;; amdgpu-corpus repo=ROCm/rocFFT kind=compiled arch=gfx950 opt=O3
	.text
	.amdgcn_target "amdgcn-amd-amdhsa--gfx950"
	.amdhsa_code_object_version 6
	.protected	bluestein_single_back_len77_dim1_sp_op_CI_CI ; -- Begin function bluestein_single_back_len77_dim1_sp_op_CI_CI
	.globl	bluestein_single_back_len77_dim1_sp_op_CI_CI
	.p2align	8
	.type	bluestein_single_back_len77_dim1_sp_op_CI_CI,@function
bluestein_single_back_len77_dim1_sp_op_CI_CI: ; @bluestein_single_back_len77_dim1_sp_op_CI_CI
; %bb.0:
	s_load_dwordx4 s[16:19], s[0:1], 0x28
	v_mul_u32_u24_e32 v1, 0x1746, v0
	v_lshrrev_b32_e32 v2, 16, v1
	v_mad_u64_u32 v[40:41], s[2:3], s2, 23, v[2:3]
	v_mov_b32_e32 v35, 0
	v_mov_b32_e32 v41, v35
	s_waitcnt lgkmcnt(0)
	v_cmp_gt_u64_e32 vcc, s[16:17], v[40:41]
	s_and_saveexec_b64 s[2:3], vcc
	s_cbranch_execz .LBB0_10
; %bb.1:
	s_load_dwordx4 s[4:7], s[0:1], 0x18
	s_load_dwordx4 s[8:11], s[0:1], 0x0
	v_mul_lo_u16_e32 v1, 11, v2
	v_sub_u16_e32 v41, v0, v1
	v_mov_b32_e32 v4, s18
	s_waitcnt lgkmcnt(0)
	s_load_dwordx4 s[12:15], s[4:5], 0x0
	v_mov_b32_e32 v5, s19
	v_mov_b32_e32 v14, 0x58
	v_lshlrev_b32_e32 v34, 3, v41
	s_mov_b32 s20, 0x3f4a47b2
	s_waitcnt lgkmcnt(0)
	v_mad_u64_u32 v[0:1], s[2:3], s14, v40, 0
	v_mov_b32_e32 v2, v1
	v_mad_u64_u32 v[2:3], s[2:3], s15, v40, v[2:3]
	v_mov_b32_e32 v1, v2
	;; [unrolled: 2-line block ×4, first 2 shown]
	v_lshl_add_u64 v[0:1], v[0:1], 3, v[4:5]
	v_lshl_add_u64 v[0:1], v[2:3], 3, v[0:1]
	global_load_dwordx2 v[2:3], v[0:1], off
	v_mad_u64_u32 v[0:1], s[2:3], s12, v14, v[0:1]
	s_mul_i32 s4, s13, 0x58
	v_add_u32_e32 v1, s4, v1
	v_mad_u64_u32 v[4:5], s[2:3], s12, v14, v[0:1]
	v_add_u32_e32 v5, s4, v5
	global_load_dwordx2 v[50:51], v34, s[8:9]
	global_load_dwordx2 v[48:49], v34, s[8:9] offset:88
	global_load_dwordx2 v[6:7], v[4:5], off
	v_mad_u64_u32 v[4:5], s[2:3], s12, v14, v[4:5]
	global_load_dwordx2 v[0:1], v[0:1], off
	v_add_u32_e32 v5, s4, v5
	global_load_dwordx2 v[46:47], v34, s[8:9] offset:176
	global_load_dwordx2 v[44:45], v34, s[8:9] offset:264
	global_load_dwordx2 v[8:9], v[4:5], off
	v_mad_u64_u32 v[4:5], s[2:3], s12, v14, v[4:5]
	v_add_u32_e32 v5, s4, v5
	global_load_dwordx2 v[10:11], v[4:5], off
	global_load_dwordx2 v[42:43], v34, s[8:9] offset:352
	v_mad_u64_u32 v[4:5], s[2:3], s12, v14, v[4:5]
	v_add_u32_e32 v5, s4, v5
	global_load_dwordx2 v[12:13], v[4:5], off
	global_load_dwordx2 v[38:39], v34, s[8:9] offset:440
	v_mad_u64_u32 v[4:5], s[2:3], s12, v14, v[4:5]
	v_add_u32_e32 v5, s4, v5
	global_load_dwordx2 v[36:37], v34, s[8:9] offset:528
	global_load_dwordx2 v[14:15], v[4:5], off
	s_mov_b32 s2, 0xb21642c9
	v_mul_hi_u32 v4, v40, s2
	v_lshrrev_b32_e32 v4, 4, v4
	v_mul_lo_u32 v4, v4, 23
	v_sub_u32_e32 v4, v40, v4
	v_mul_u32_u24_e32 v4, 0x4d, v4
	v_lshlrev_b32_e32 v171, 3, v4
	v_add_u32_e32 v170, v34, v171
	s_load_dwordx4 s[4:7], s[6:7], 0x0
	s_mov_b32 s12, 0x3f3bfb3b
	s_load_dwordx2 s[2:3], s[0:1], 0x38
	s_mov_b32 s0, 0x3d64c772
	s_mov_b32 s16, 0xbf08b237
	;; [unrolled: 1-line block ×5, first 2 shown]
	v_cmp_gt_u16_e32 vcc, 7, v41
	s_waitcnt vmcnt(12)
	v_mul_f32_e32 v4, v3, v51
	v_mul_f32_e32 v5, v2, v51
	v_fmac_f32_e32 v4, v2, v50
	v_fma_f32 v5, v3, v50, -v5
	s_waitcnt vmcnt(9)
	v_mul_f32_e32 v2, v1, v49
	v_mul_f32_e32 v3, v0, v49
	v_fmac_f32_e32 v2, v0, v48
	v_fma_f32 v3, v1, v48, -v3
	ds_write2_b64 v170, v[4:5], v[2:3] offset1:11
	s_waitcnt vmcnt(8)
	v_mul_f32_e32 v0, v7, v47
	v_mul_f32_e32 v1, v6, v47
	s_waitcnt vmcnt(6)
	v_mul_f32_e32 v2, v9, v45
	v_mul_f32_e32 v3, v8, v45
	v_fmac_f32_e32 v0, v6, v46
	v_fma_f32 v1, v7, v46, -v1
	v_fmac_f32_e32 v2, v8, v44
	v_fma_f32 v3, v9, v44, -v3
	ds_write2_b64 v170, v[0:1], v[2:3] offset0:22 offset1:33
	s_waitcnt vmcnt(4)
	v_mul_f32_e32 v0, v11, v43
	v_mul_f32_e32 v1, v10, v43
	s_waitcnt vmcnt(2)
	v_mul_f32_e32 v2, v13, v39
	v_mul_f32_e32 v3, v12, v39
	v_fmac_f32_e32 v0, v10, v42
	v_fma_f32 v1, v11, v42, -v1
	v_fmac_f32_e32 v2, v12, v38
	v_fma_f32 v3, v13, v38, -v3
	ds_write2_b64 v170, v[0:1], v[2:3] offset0:44 offset1:55
	s_waitcnt vmcnt(0)
	v_mul_f32_e32 v0, v15, v37
	v_mul_f32_e32 v1, v14, v37
	v_fmac_f32_e32 v0, v14, v36
	v_fma_f32 v1, v15, v36, -v1
	ds_write_b64 v170, v[0:1] offset:528
	s_waitcnt lgkmcnt(0)
	s_barrier
	ds_read2_b64 v[0:3], v170 offset1:11
	ds_read2_b64 v[4:7], v170 offset0:22 offset1:33
	ds_read_b64 v[12:13], v170 offset:528
	ds_read2_b64 v[8:11], v170 offset0:44 offset1:55
	s_waitcnt lgkmcnt(0)
	s_barrier
	v_pk_add_f32 v[14:15], v[2:3], v[12:13]
	v_pk_add_f32 v[16:17], v[4:5], v[10:11]
	;; [unrolled: 1-line block ×3, first 2 shown]
	v_pk_add_f32 v[4:5], v[4:5], v[10:11] neg_lo:[0,1] neg_hi:[0,1]
	v_pk_add_f32 v[6:7], v[8:9], v[6:7] neg_lo:[0,1] neg_hi:[0,1]
	v_pk_add_f32 v[8:9], v[16:17], v[14:15]
	v_pk_add_f32 v[2:3], v[2:3], v[12:13] neg_lo:[0,1] neg_hi:[0,1]
	v_pk_add_f32 v[10:11], v[16:17], v[14:15] op_sel:[1,1] op_sel_hi:[0,0] neg_lo:[0,1] neg_hi:[0,1]
	v_pk_add_f32 v[12:13], v[18:19], v[16:17] op_sel:[1,1] op_sel_hi:[0,0] neg_lo:[0,1] neg_hi:[0,1]
	v_pk_add_f32 v[16:17], v[6:7], v[4:5]
	v_pk_add_f32 v[8:9], v[18:19], v[8:9]
	v_sub_f32_e32 v32, v14, v18
	v_pk_add_f32 v[52:53], v[0:1], v[8:9]
	v_pk_add_f32 v[20:21], v[6:7], v[4:5] neg_lo:[0,1] neg_hi:[0,1]
	v_sub_f32_e32 v0, v3, v7
	v_pk_add_f32 v[4:5], v[4:5], v[2:3] neg_lo:[0,1] neg_hi:[0,1]
	v_pk_add_f32 v[16:17], v[16:17], v[2:3]
	v_mov_b32_e32 v14, v15
	v_mov_b32_e32 v15, v2
	;; [unrolled: 1-line block ×4, first 2 shown]
	v_pk_mul_f32 v[22:23], v[12:13], s[0:1] op_sel_hi:[1,0]
	v_pk_mul_f32 v[24:25], v[10:11], s[12:13] op_sel_hi:[1,0]
	s_mov_b32 s1, 0xbf4a47b2
	v_pk_add_f32 v[2:3], v[14:15], v[2:3] neg_lo:[0,1] neg_hi:[0,1]
	v_pk_mul_f32 v[28:29], v[20:21], s[16:17] op_sel_hi:[1,0]
	v_pk_mul_f32 v[30:31], v[4:5], s[18:19] op_sel_hi:[1,0]
	v_fmamk_f32 v33, v32, 0x3f4a47b2, v23
	v_fma_f32 v32, v32, s1, -v25
	s_mov_b32 s1, 0xbeae86e6
	v_pk_mul_f32 v[6:7], v[2:3], s[20:21]
	v_mul_f32_e32 v1, 0x3f955555, v9
	v_pk_mul_f32 v[26:27], v[16:17], s[14:15] op_sel_hi:[1,0]
	v_pk_fma_f32 v[10:11], v[10:11], s[12:13], v[22:23] op_sel_hi:[1,0,1] neg_lo:[0,0,1] neg_hi:[0,0,1]
	v_pk_fma_f32 v[4:5], v[4:5], s[18:19], v[28:29] op_sel_hi:[1,0,1] neg_lo:[0,0,1] neg_hi:[0,0,1]
	v_fmac_f32_e32 v29, 0x3eae86e6, v0
	v_xor_b32_e32 v23, 0x80000000, v30
	v_fma_f32 v28, v0, s1, -v31
	v_mov_b32_e32 v0, v7
	v_pk_add_f32 v[28:29], v[26:27], v[28:29] op_sel:[1,0]
	v_pk_fma_f32 v[14:15], v[20:21], s[16:17], v[0:1] op_sel_hi:[1,0,1]
	v_pk_add_f32 v[0:1], v[52:53], v[0:1] neg_lo:[0,1] neg_hi:[0,1]
	v_sub_f32_e64 v27, -v6, v24
	v_pk_fma_f32 v[6:7], v[12:13], s[0:1], v[6:7] op_sel_hi:[1,0,1]
	v_pk_fma_f32 v[2:3], v[2:3], s[20:21], v[22:23] neg_lo:[1,0,0] neg_hi:[1,0,0]
	v_fmamk_f32 v8, v8, 0xbf955555, v52
	v_mov_b32_e32 v15, v1
	v_mov_b32_e32 v18, v1
	;; [unrolled: 1-line block ×6, first 2 shown]
	v_pk_add_f32 v[2:3], v[26:27], v[14:15]
	v_pk_add_f32 v[0:1], v[6:7], v[0:1]
	v_pk_fma_f32 v[4:5], v[16:17], s[14:15], v[4:5] op_sel_hi:[1,0,1]
	v_pk_add_f32 v[16:17], v[32:33], v[8:9] op_sel_hi:[1,0]
	v_pk_add_f32 v[8:9], v[10:11], v[18:19]
	v_mov_b32_e32 v6, v3
	v_mov_b32_e32 v7, v0
	;; [unrolled: 1-line block ×4, first 2 shown]
	v_pk_add_f32 v[54:55], v[16:17], v[28:29]
	v_pk_add_f32 v[24:25], v[6:7], v[10:11] neg_lo:[0,1] neg_hi:[0,1]
	v_pk_add_f32 v[58:59], v[0:1], v[2:3]
	v_mul_lo_u16_e32 v0, 7, v41
	v_pk_add_f32 v[56:57], v[4:5], v[8:9]
	v_pk_add_f32 v[26:27], v[8:9], v[4:5] neg_lo:[0,1] neg_hi:[0,1]
	v_lshl_add_u32 v172, v0, 3, v171
	v_mov_b32_e32 v0, v55
	v_mov_b32_e32 v1, v25
	v_pk_add_f32 v[20:21], v[16:17], v[28:29] neg_lo:[0,1] neg_hi:[0,1]
	ds_write2_b64 v172, v[52:53], v[0:1] offset1:1
	v_mov_b32_e32 v0, v54
	v_mov_b32_e32 v1, v24
	;; [unrolled: 1-line block ×4, first 2 shown]
	ds_write2_b64 v172, v[0:1], v[2:3] offset0:2 offset1:3
	v_mov_b32_e32 v0, v57
	v_mov_b32_e32 v1, v26
	;; [unrolled: 1-line block ×4, first 2 shown]
	ds_write2_b64 v172, v[0:1], v[2:3] offset0:4 offset1:5
	v_mov_b32_e32 v0, v21
	v_mov_b32_e32 v1, v58
	v_cmp_lt_u16_e64 s[0:1], 6, v41
	ds_write_b64 v172, v[0:1] offset:48
	s_waitcnt lgkmcnt(0)
	s_barrier
	s_and_saveexec_b64 s[12:13], s[0:1]
	s_xor_b64 s[12:13], exec, s[12:13]
	s_or_saveexec_b64 s[12:13], s[12:13]
                                        ; implicit-def: $vgpr28
                                        ; implicit-def: $vgpr22
                                        ; implicit-def: $vgpr30
                                        ; implicit-def: $vgpr62
                                        ; implicit-def: $vgpr66
                                        ; implicit-def: $vgpr60
                                        ; implicit-def: $vgpr64
	s_xor_b64 exec, exec, s[12:13]
	s_cbranch_execz .LBB0_3
; %bb.2:
	ds_read2_b64 v[22:25], v170 offset1:7
	ds_read2_b64 v[26:29], v170 offset0:42 offset1:49
	ds_read2_b64 v[18:21], v170 offset0:28 offset1:35
	;; [unrolled: 1-line block ×4, first 2 shown]
	ds_read_b64 v[60:61], v170 offset:560
	s_waitcnt lgkmcnt(4)
	v_mov_b32_e32 v58, v27
	s_waitcnt lgkmcnt(3)
	v_mov_b32_e32 v59, v21
	;; [unrolled: 2-line block ×3, first 2 shown]
	v_mov_b32_e32 v57, v18
	v_mov_b32_e32 v54, v0
	;; [unrolled: 1-line block ×7, first 2 shown]
	v_mov_b64_e32 v[52:53], v[22:23]
	v_mov_b32_e32 v22, v29
	s_waitcnt lgkmcnt(1)
	v_mov_b32_e32 v62, v31
	v_mov_b32_e32 v66, v33
	s_waitcnt lgkmcnt(0)
	v_mov_b32_e32 v64, v61
.LBB0_3:
	s_or_b64 exec, exec, s[12:13]
	v_add_u32_e32 v0, -7, v41
	v_cndmask_b32_e32 v0, v0, v41, vcc
	v_mul_hi_i32_i24_e32 v1, 10, v0
	v_mul_i32_i24_e32 v0, 10, v0
	v_lshl_add_u64 v[68:69], v[0:1], 3, s[10:11]
	global_load_dwordx4 v[0:3], v[68:69], off offset:32
	global_load_dwordx4 v[4:7], v[68:69], off offset:48
	global_load_dwordx4 v[8:11], v[68:69], off offset:64
	global_load_dwordx4 v[12:15], v[68:69], off
	global_load_dwordx4 v[16:19], v[68:69], off offset:16
	s_mov_b32 s22, 0xbf68dda4
	s_mov_b32 s12, 0xbf4178ce
	;; [unrolled: 1-line block ×12, first 2 shown]
	s_waitcnt vmcnt(4)
	v_pk_mul_f32 v[68:69], v[58:59], v[0:1] op_sel:[1,0]
	v_pk_mul_f32 v[70:71], v[58:59], v[2:3] op_sel_hi:[0,1]
	s_waitcnt vmcnt(3)
	v_pk_mul_f32 v[22:23], v[22:23], v[4:5] op_sel_hi:[0,1]
	v_pk_mul_f32 v[72:73], v[62:63], v[6:7] op_sel_hi:[0,1]
	s_waitcnt vmcnt(2)
	v_pk_mul_f32 v[74:75], v[66:67], v[8:9] op_sel_hi:[0,1]
	s_waitcnt vmcnt(1)
	v_pk_mul_f32 v[76:77], v[24:25], v[12:13] op_sel:[1,0]
	v_pk_mul_f32 v[24:25], v[24:25], v[14:15] op_sel_hi:[0,1]
	s_waitcnt vmcnt(0)
	v_pk_mul_f32 v[78:79], v[56:57], v[16:17] op_sel_hi:[0,1]
	v_pk_mul_f32 v[80:81], v[26:27], v[18:19] op_sel_hi:[0,1]
	;; [unrolled: 1-line block ×3, first 2 shown]
	v_pk_fma_f32 v[58:59], v[20:21], v[0:1], v[68:69] op_sel:[0,0,1] op_sel_hi:[1,1,0] neg_lo:[0,0,1] neg_hi:[0,0,1]
	v_pk_fma_f32 v[84:85], v[20:21], v[0:1], v[68:69] op_sel:[0,0,1] op_sel_hi:[0,1,0]
	v_pk_fma_f32 v[62:63], v[20:21], v[2:3], v[70:71] op_sel:[1,0,1] op_sel_hi:[1,1,0] neg_lo:[0,0,1] neg_hi:[0,0,1]
	v_pk_fma_f32 v[20:21], v[20:21], v[2:3], v[70:71] op_sel:[1,0,1] op_sel_hi:[1,1,0]
	;; [unrolled: 2-line block ×10, first 2 shown]
	v_mov_b32_e32 v73, v33
	v_mov_b32_e32 v71, v57
	;; [unrolled: 1-line block ×4, first 2 shown]
	v_pk_add_f32 v[110:111], v[72:73], v[70:71] neg_lo:[0,1] neg_hi:[0,1]
	v_mov_b32_e32 v77, v27
	v_mov_b32_e32 v63, v21
	;; [unrolled: 1-line block ×3, first 2 shown]
	v_pk_add_f32 v[32:33], v[72:73], v[70:71]
	v_pk_add_f32 v[112:113], v[74:75], v[68:69] neg_lo:[0,1] neg_hi:[0,1]
	v_pk_mul_f32 v[20:21], v[110:111], s[22:23] op_sel:[1,0] op_sel_hi:[0,0]
	v_mov_b32_e32 v65, v23
	v_pk_add_f32 v[30:31], v[74:75], v[68:69]
	v_pk_add_f32 v[114:115], v[76:77], v[66:67] neg_lo:[0,1] neg_hi:[0,1]
	v_pk_mul_f32 v[22:23], v[112:113], s[12:13] op_sel:[1,0] op_sel_hi:[0,0]
	v_pk_fma_f32 v[94:95], v[32:33], s[14:15], v[20:21] op_sel_hi:[1,0,1]
	v_pk_fma_f32 v[96:97], v[32:33], s[14:15], v[20:21] op_sel_hi:[1,0,1] neg_lo:[0,0,1] neg_hi:[0,0,1]
	v_pk_add_f32 v[28:29], v[76:77], v[66:67]
	v_pk_mul_f32 v[26:27], v[114:115], s[24:25] op_sel:[1,0] op_sel_hi:[0,0]
	v_pk_fma_f32 v[90:91], v[30:31], s[10:11], v[22:23] op_sel_hi:[1,0,1]
	v_pk_fma_f32 v[92:93], v[30:31], s[10:11], v[22:23] op_sel_hi:[1,0,1] neg_lo:[0,0,1] neg_hi:[0,0,1]
	v_mov_b32_e32 v20, v94
	v_mov_b32_e32 v21, v97
	v_pk_fma_f32 v[86:87], v[28:29], s[20:21], v[26:27] op_sel_hi:[1,0,1]
	v_pk_fma_f32 v[88:89], v[28:29], s[20:21], v[26:27] op_sel_hi:[1,0,1] neg_lo:[0,0,1] neg_hi:[0,0,1]
	v_mov_b32_e32 v22, v90
	v_mov_b32_e32 v23, v93
	v_pk_add_f32 v[20:21], v[52:53], v[20:21]
	v_pk_mul_f32 v[56:57], v[110:111], s[18:19] op_sel:[1,0] op_sel_hi:[0,0]
	v_mov_b32_e32 v26, v86
	v_mov_b32_e32 v27, v89
	v_pk_add_f32 v[20:21], v[22:23], v[20:21]
	v_pk_fma_f32 v[60:61], v[32:33], s[16:17], v[56:57] op_sel_hi:[1,0,1]
	v_pk_fma_f32 v[80:81], v[32:33], s[16:17], v[56:57] op_sel_hi:[1,0,1] neg_lo:[0,0,1] neg_hi:[0,0,1]
	v_pk_add_f32 v[20:21], v[26:27], v[20:21]
	v_pk_mul_f32 v[26:27], v[112:113], s[24:25] op_sel:[1,0] op_sel_hi:[0,0]
	v_mov_b32_e32 v56, v60
	v_mov_b32_e32 v57, v81
	v_pk_fma_f32 v[100:101], v[30:31], s[20:21], v[26:27] op_sel_hi:[1,0,1]
	v_pk_fma_f32 v[102:103], v[30:31], s[20:21], v[26:27] op_sel_hi:[1,0,1] neg_lo:[0,0,1] neg_hi:[0,0,1]
	v_pk_add_f32 v[22:23], v[52:53], v[56:57]
	v_mov_b32_e32 v26, v100
	v_mov_b32_e32 v27, v103
	s_mov_b32 s24, 0x3f68dda4
	v_pk_add_f32 v[22:23], v[26:27], v[22:23]
	v_pk_mul_f32 v[26:27], v[114:115], s[24:25] op_sel:[1,0] op_sel_hi:[0,0]
	v_mov_b32_e32 v79, v55
	v_pk_fma_f32 v[104:105], v[28:29], s[14:15], v[26:27] op_sel_hi:[1,0,1]
	v_pk_fma_f32 v[106:107], v[28:29], s[14:15], v[26:27] op_sel_hi:[1,0,1] neg_lo:[0,0,1] neg_hi:[0,0,1]
	v_pk_add_f32 v[116:117], v[78:79], v[64:65] neg_lo:[0,1] neg_hi:[0,1]
	v_mov_b32_e32 v26, v104
	v_mov_b32_e32 v27, v107
	v_pk_add_f32 v[24:25], v[78:79], v[64:65]
	v_pk_add_f32 v[22:23], v[26:27], v[22:23]
	v_pk_mul_f32 v[26:27], v[116:117], s[34:35] op_sel:[1,0] op_sel_hi:[0,0]
	v_mov_b32_e32 v59, v85
	v_pk_fma_f32 v[108:109], v[24:25], s[26:27], v[26:27] op_sel_hi:[1,0,1]
	v_pk_fma_f32 v[118:119], v[24:25], s[26:27], v[26:27] op_sel_hi:[1,0,1] neg_lo:[0,0,1] neg_hi:[0,0,1]
	v_pk_mul_f32 v[54:55], v[116:117], s[30:31] op_sel:[1,0] op_sel_hi:[0,0]
	v_mov_b32_e32 v26, v108
	v_mov_b32_e32 v27, v119
	v_pk_add_f32 v[148:149], v[58:59], v[62:63] neg_lo:[0,1] neg_hi:[0,1]
	v_pk_fma_f32 v[82:83], v[24:25], s[16:17], v[54:55] op_sel_hi:[1,0,1]
	v_pk_fma_f32 v[84:85], v[24:25], s[16:17], v[54:55] op_sel_hi:[1,0,1] neg_lo:[0,0,1] neg_hi:[0,0,1]
	v_pk_add_f32 v[26:27], v[26:27], v[22:23]
	v_pk_add_f32 v[56:57], v[58:59], v[62:63]
	v_pk_mul_f32 v[22:23], v[148:149], s[28:29] op_sel:[1,0] op_sel_hi:[0,0]
	v_mov_b32_e32 v54, v82
	v_mov_b32_e32 v55, v85
	v_pk_fma_f32 v[136:137], v[56:57], s[26:27], v[22:23] op_sel_hi:[1,0,1]
	v_pk_fma_f32 v[138:139], v[56:57], s[26:27], v[22:23] op_sel_hi:[1,0,1] neg_lo:[0,0,1] neg_hi:[0,0,1]
	v_pk_add_f32 v[20:21], v[54:55], v[20:21]
	v_mov_b32_e32 v22, v136
	v_mov_b32_e32 v23, v139
	v_pk_add_f32 v[22:23], v[22:23], v[20:21]
	v_pk_mul_f32 v[20:21], v[148:149], s[12:13] op_sel:[1,0] op_sel_hi:[0,0]
	v_pk_fma_f32 v[120:121], v[56:57], s[10:11], v[20:21] op_sel_hi:[1,0,1]
	v_pk_fma_f32 v[122:123], v[56:57], s[10:11], v[20:21] op_sel_hi:[1,0,1] neg_lo:[0,0,1] neg_hi:[0,0,1]
	v_mov_b32_e32 v20, v120
	v_mov_b32_e32 v21, v123
	v_pk_add_f32 v[20:21], v[20:21], v[26:27]
	v_pk_mul_f32 v[26:27], v[110:111], s[12:13] op_sel:[1,0] op_sel_hi:[0,0]
	v_pk_fma_f32 v[124:125], v[32:33], s[10:11], v[26:27] op_sel_hi:[1,0,1]
	v_pk_fma_f32 v[126:127], v[32:33], s[10:11], v[26:27] op_sel_hi:[1,0,1] neg_lo:[0,0,1] neg_hi:[0,0,1]
	v_pk_mul_f32 v[54:55], v[112:113], s[30:31] op_sel:[1,0] op_sel_hi:[0,0]
	v_mov_b32_e32 v26, v124
	v_mov_b32_e32 v27, v127
	v_pk_fma_f32 v[128:129], v[30:31], s[16:17], v[54:55] op_sel_hi:[1,0,1]
	v_pk_fma_f32 v[130:131], v[30:31], s[16:17], v[54:55] op_sel_hi:[1,0,1] neg_lo:[0,0,1] neg_hi:[0,0,1]
	v_pk_add_f32 v[26:27], v[52:53], v[26:27]
	v_mov_b32_e32 v54, v128
	v_mov_b32_e32 v55, v131
	v_pk_add_f32 v[26:27], v[54:55], v[26:27]
	v_pk_mul_f32 v[54:55], v[114:115], s[34:35] op_sel:[1,0] op_sel_hi:[0,0]
	v_pk_fma_f32 v[132:133], v[28:29], s[26:27], v[54:55] op_sel_hi:[1,0,1]
	v_pk_fma_f32 v[134:135], v[28:29], s[26:27], v[54:55] op_sel_hi:[1,0,1] neg_lo:[0,0,1] neg_hi:[0,0,1]
	v_mov_b32_e32 v54, v132
	v_mov_b32_e32 v55, v135
	s_mov_b32 s30, 0xbe903f40
	v_pk_add_f32 v[26:27], v[54:55], v[26:27]
	v_pk_mul_f32 v[54:55], v[116:117], s[30:31] op_sel:[1,0] op_sel_hi:[0,0]
	v_pk_fma_f32 v[140:141], v[24:25], s[20:21], v[54:55] op_sel_hi:[1,0,1]
	v_pk_fma_f32 v[142:143], v[24:25], s[20:21], v[54:55] op_sel_hi:[1,0,1] neg_lo:[0,0,1] neg_hi:[0,0,1]
	v_mov_b32_e32 v54, v140
	v_mov_b32_e32 v55, v143
	v_pk_add_f32 v[26:27], v[54:55], v[26:27]
	v_pk_mul_f32 v[54:55], v[110:111], s[34:35] op_sel:[1,0] op_sel_hi:[0,0]
	v_pk_fma_f32 v[150:151], v[32:33], s[26:27], v[54:55] op_sel_hi:[1,0,1]
	v_pk_fma_f32 v[152:153], v[32:33], s[26:27], v[54:55] op_sel_hi:[1,0,1] neg_lo:[0,0,1] neg_hi:[0,0,1]
	v_pk_mul_f32 v[98:99], v[112:113], s[22:23] op_sel:[1,0] op_sel_hi:[0,0]
	v_mov_b32_e32 v54, v150
	v_mov_b32_e32 v55, v153
	v_pk_fma_f32 v[154:155], v[30:31], s[14:15], v[98:99] op_sel_hi:[1,0,1]
	v_pk_fma_f32 v[156:157], v[30:31], s[14:15], v[98:99] op_sel_hi:[1,0,1] neg_lo:[0,0,1] neg_hi:[0,0,1]
	v_pk_add_f32 v[54:55], v[52:53], v[54:55]
	v_mov_b32_e32 v98, v154
	v_mov_b32_e32 v99, v157
	v_pk_add_f32 v[54:55], v[98:99], v[54:55]
	v_pk_mul_f32 v[98:99], v[114:115], s[18:19] op_sel:[1,0] op_sel_hi:[0,0]
	v_pk_fma_f32 v[158:159], v[28:29], s[16:17], v[98:99] op_sel_hi:[1,0,1]
	v_pk_fma_f32 v[160:161], v[28:29], s[16:17], v[98:99] op_sel_hi:[1,0,1] neg_lo:[0,0,1] neg_hi:[0,0,1]
	v_mov_b32_e32 v98, v158
	v_mov_b32_e32 v99, v161
	v_pk_add_f32 v[54:55], v[98:99], v[54:55]
	v_pk_mul_f32 v[98:99], v[116:117], s[12:13] op_sel:[1,0] op_sel_hi:[0,0]
	v_pk_fma_f32 v[162:163], v[24:25], s[10:11], v[98:99] op_sel_hi:[1,0,1]
	v_pk_fma_f32 v[164:165], v[24:25], s[10:11], v[98:99] op_sel_hi:[1,0,1] neg_lo:[0,0,1] neg_hi:[0,0,1]
	v_mov_b32_e32 v98, v162
	v_mov_b32_e32 v99, v165
	v_pk_add_f32 v[54:55], v[98:99], v[54:55]
	v_pk_mul_f32 v[98:99], v[148:149], s[30:31] op_sel:[1,0] op_sel_hi:[0,0]
	v_pk_fma_f32 v[166:167], v[56:57], s[20:21], v[98:99] op_sel_hi:[1,0,1]
	v_pk_fma_f32 v[168:169], v[56:57], s[20:21], v[98:99] op_sel_hi:[1,0,1] neg_lo:[0,0,1] neg_hi:[0,0,1]
	v_mov_b32_e32 v98, v166
	v_mov_b32_e32 v99, v169
	v_pk_add_f32 v[54:55], v[98:99], v[54:55]
	v_pk_mul_f32 v[98:99], v[148:149], s[24:25] op_sel:[1,0] op_sel_hi:[0,0]
	v_pk_fma_f32 v[144:145], v[56:57], s[14:15], v[98:99] op_sel_hi:[1,0,1]
	v_pk_fma_f32 v[146:147], v[56:57], s[14:15], v[98:99] op_sel_hi:[1,0,1] neg_lo:[0,0,1] neg_hi:[0,0,1]
	v_mov_b32_e32 v98, v144
	v_mov_b32_e32 v99, v147
	v_pk_add_f32 v[26:27], v[98:99], v[26:27]
	v_lshl_add_u64 v[98:99], s[8:9], 0, v[34:35]
	s_and_saveexec_b64 s[22:23], vcc
	s_cbranch_execz .LBB0_5
; %bb.4:
	v_pk_add_f32 v[72:73], v[52:53], v[72:73]
	v_mov_b32_e32 v153, v151
	v_pk_add_f32 v[72:73], v[72:73], v[74:75]
	v_mov_b32_e32 v97, v95
	;; [unrolled: 2-line block ×5, first 2 shown]
	v_pk_add_f32 v[58:59], v[58:59], v[62:63]
	v_pk_add_f32 v[62:63], v[52:53], v[96:97]
	;; [unrolled: 1-line block ×5, first 2 shown]
	v_mov_b32_e32 v89, v87
	v_pk_add_f32 v[58:59], v[58:59], v[68:69]
	v_mov_b32_e32 v165, v163
	v_pk_add_f32 v[58:59], v[58:59], v[70:71]
	ds_write_b64 v170, v[58:59]
	v_pk_add_f32 v[58:59], v[52:53], v[152:153]
	v_pk_add_f32 v[62:63], v[88:89], v[62:63]
	;; [unrolled: 1-line block ×3, first 2 shown]
	v_mov_b32_e32 v85, v83
	v_pk_add_f32 v[58:59], v[160:161], v[58:59]
	v_mov_b32_e32 v169, v167
	v_pk_add_f32 v[58:59], v[164:165], v[58:59]
	v_pk_add_f32 v[62:63], v[84:85], v[62:63]
	v_mov_b32_e32 v139, v137
	v_lshl_add_u32 v35, v41, 3, v171
	v_pk_add_f32 v[58:59], v[168:169], v[58:59]
	v_pk_add_f32 v[62:63], v[138:139], v[62:63]
	v_mov_b32_e32 v81, v61
	v_mov_b32_e32 v127, v125
	ds_write2_b64 v35, v[58:59], v[62:63] offset0:7 offset1:14
	v_pk_add_f32 v[58:59], v[52:53], v[80:81]
	v_mov_b32_e32 v103, v101
	v_pk_add_f32 v[60:61], v[52:53], v[126:127]
	v_mov_b32_e32 v131, v129
	;; [unrolled: 2-line block ×8, first 2 shown]
	v_mov_b32_e32 v174, v111
	v_mov_b32_e32 v175, v110
	v_pk_add_f32 v[58:59], v[122:123], v[58:59]
	v_pk_add_f32 v[60:61], v[146:147], v[60:61]
	v_mov_b32_e32 v110, v113
	v_mov_b32_e32 v111, v112
	ds_write2_b64 v35, v[58:59], v[60:61] offset0:21 offset1:28
	v_pk_mul_f32 v[58:59], v[174:175], s[30:31] op_sel_hi:[1,0]
	v_pk_mul_f32 v[62:63], v[110:111], s[28:29] op_sel_hi:[1,0]
	v_pk_fma_f32 v[60:61], v[32:33], s[20:21], v[58:59] op_sel_hi:[1,0,1] neg_lo:[0,0,1] neg_hi:[0,0,1]
	v_pk_fma_f32 v[32:33], v[32:33], s[20:21], v[58:59] op_sel_hi:[1,0,1]
	v_mov_b32_e32 v58, v60
	v_mov_b32_e32 v59, v33
	v_pk_fma_f32 v[64:65], v[30:31], s[26:27], v[62:63] op_sel_hi:[1,0,1] neg_lo:[0,0,1] neg_hi:[0,0,1]
	v_pk_fma_f32 v[30:31], v[30:31], s[26:27], v[62:63] op_sel_hi:[1,0,1]
	v_mov_b32_e32 v112, v115
	v_mov_b32_e32 v113, v114
	v_pk_add_f32 v[58:59], v[52:53], v[58:59]
	v_mov_b32_e32 v62, v64
	v_mov_b32_e32 v63, v31
	v_pk_add_f32 v[58:59], v[62:63], v[58:59]
	v_pk_mul_f32 v[62:63], v[112:113], s[12:13] op_sel_hi:[1,0]
	v_mov_b32_e32 v114, v117
	v_pk_fma_f32 v[66:67], v[28:29], s[10:11], v[62:63] op_sel_hi:[1,0,1] neg_lo:[0,0,1] neg_hi:[0,0,1]
	v_pk_fma_f32 v[28:29], v[28:29], s[10:11], v[62:63] op_sel_hi:[1,0,1]
	v_mov_b32_e32 v115, v116
	v_mov_b32_e32 v62, v66
	;; [unrolled: 1-line block ×3, first 2 shown]
	v_pk_add_f32 v[58:59], v[62:63], v[58:59]
	v_pk_mul_f32 v[62:63], v[114:115], s[24:25] op_sel_hi:[1,0]
	v_mov_b32_e32 v33, v61
	v_pk_fma_f32 v[68:69], v[24:25], s[14:15], v[62:63] op_sel_hi:[1,0,1] neg_lo:[0,0,1] neg_hi:[0,0,1]
	v_pk_fma_f32 v[24:25], v[24:25], s[14:15], v[62:63] op_sel_hi:[1,0,1]
	v_mov_b32_e32 v116, v149
	v_mov_b32_e32 v117, v148
	v_mov_b32_e32 v62, v68
	v_mov_b32_e32 v63, v25
	v_pk_add_f32 v[32:33], v[52:53], v[32:33]
	v_mov_b32_e32 v31, v65
	v_pk_add_f32 v[58:59], v[62:63], v[58:59]
	v_pk_mul_f32 v[62:63], v[116:117], s[18:19] op_sel_hi:[1,0]
	v_pk_add_f32 v[30:31], v[30:31], v[32:33]
	v_mov_b32_e32 v29, v67
	v_pk_fma_f32 v[70:71], v[56:57], s[16:17], v[62:63] op_sel_hi:[1,0,1] neg_lo:[0,0,1] neg_hi:[0,0,1]
	v_pk_fma_f32 v[56:57], v[56:57], s[16:17], v[62:63] op_sel_hi:[1,0,1]
	v_pk_add_f32 v[28:29], v[28:29], v[30:31]
	v_mov_b32_e32 v25, v69
	v_mov_b32_e32 v62, v70
	v_mov_b32_e32 v63, v57
	v_pk_add_f32 v[24:25], v[24:25], v[28:29]
	v_mov_b32_e32 v57, v71
	v_pk_add_f32 v[58:59], v[62:63], v[58:59]
	v_pk_add_f32 v[24:25], v[56:57], v[24:25]
	ds_write2_b64 v35, v[58:59], v[24:25] offset0:35 offset1:42
	ds_write2_b64 v35, v[26:27], v[20:21] offset0:49 offset1:56
	;; [unrolled: 1-line block ×3, first 2 shown]
.LBB0_5:
	s_or_b64 exec, exec, s[22:23]
	s_waitcnt lgkmcnt(0)
	s_barrier
	global_load_dwordx2 v[24:25], v[98:99], off offset:616
	s_add_u32 s8, s8, 0x268
	s_addc_u32 s9, s9, 0
	global_load_dwordx2 v[32:33], v34, s[8:9] offset:88
	global_load_dwordx2 v[52:53], v34, s[8:9] offset:176
	;; [unrolled: 1-line block ×6, first 2 shown]
	ds_read2_b64 v[28:31], v170 offset1:11
	s_mov_b32 s8, 0x3f4a47b2
	s_mov_b32 s9, 0xbeae86e6
	;; [unrolled: 1-line block ×8, first 2 shown]
	s_waitcnt vmcnt(6) lgkmcnt(0)
	v_mul_f32_e32 v34, v29, v25
	v_mul_f32_e32 v35, v28, v25
	v_fma_f32 v34, v28, v24, -v34
	v_fmac_f32_e32 v35, v29, v24
	s_waitcnt vmcnt(5)
	v_mul_f32_e32 v24, v31, v33
	v_mul_f32_e32 v25, v30, v33
	v_fma_f32 v24, v30, v32, -v24
	v_fmac_f32_e32 v25, v31, v32
	ds_write2_b64 v170, v[34:35], v[24:25] offset1:11
	ds_read2_b64 v[28:31], v170 offset0:22 offset1:33
	ds_read2_b64 v[32:35], v170 offset0:44 offset1:55
	ds_read_b64 v[24:25], v170 offset:528
	s_waitcnt vmcnt(4) lgkmcnt(2)
	v_mul_f32_e32 v64, v29, v53
	v_mul_f32_e32 v65, v28, v53
	s_waitcnt vmcnt(3)
	v_mul_f32_e32 v66, v31, v57
	v_mul_f32_e32 v53, v30, v57
	s_waitcnt vmcnt(2) lgkmcnt(1)
	v_mul_f32_e32 v67, v33, v59
	v_mul_f32_e32 v57, v32, v59
	s_waitcnt vmcnt(1)
	v_mul_f32_e32 v68, v35, v61
	v_mul_f32_e32 v59, v34, v61
	s_waitcnt vmcnt(0) lgkmcnt(0)
	v_mul_f32_e32 v69, v25, v63
	v_mul_f32_e32 v61, v24, v63
	v_fma_f32 v64, v28, v52, -v64
	v_fmac_f32_e32 v65, v29, v52
	v_fma_f32 v52, v30, v56, -v66
	v_fmac_f32_e32 v53, v31, v56
	;; [unrolled: 2-line block ×5, first 2 shown]
	ds_write2_b64 v170, v[64:65], v[52:53] offset0:22 offset1:33
	ds_write2_b64 v170, v[56:57], v[58:59] offset0:44 offset1:55
	ds_write_b64 v170, v[60:61] offset:528
	s_waitcnt lgkmcnt(0)
	s_barrier
	ds_read2_b64 v[28:31], v170 offset1:11
	ds_read_b64 v[24:25], v170 offset:528
	ds_read2_b64 v[32:35], v170 offset0:22 offset1:33
	ds_read2_b64 v[56:59], v170 offset0:44 offset1:55
	s_waitcnt lgkmcnt(0)
	s_barrier
	v_mov_b32_e32 v62, v30
	v_mov_b32_e32 v63, v34
	;; [unrolled: 1-line block ×4, first 2 shown]
	v_pk_add_f32 v[66:67], v[56:57], v[34:35]
	v_pk_add_f32 v[68:69], v[56:57], v[34:35] neg_lo:[0,1] neg_hi:[0,1]
	v_mov_b32_e32 v56, v31
	v_mov_b32_e32 v34, v25
	v_pk_add_f32 v[52:53], v[30:31], v[24:25]
	v_pk_add_f32 v[60:61], v[30:31], v[24:25] neg_lo:[0,1] neg_hi:[0,1]
	v_pk_add_f32 v[24:25], v[32:33], v[58:59]
	v_pk_add_f32 v[30:31], v[32:33], v[58:59] neg_lo:[0,1] neg_hi:[0,1]
	;; [unrolled: 2-line block ×3, first 2 shown]
	v_mov_b32_e32 v32, v53
	v_mov_b32_e32 v33, v60
	;; [unrolled: 1-line block ×7, first 2 shown]
	v_pk_add_f32 v[56:57], v[24:25], v[52:53]
	v_pk_add_f32 v[52:53], v[24:25], v[52:53] neg_lo:[0,1] neg_hi:[0,1]
	v_pk_add_f32 v[32:33], v[32:33], v[62:63] neg_lo:[0,1] neg_hi:[0,1]
	v_sub_f32_e32 v70, v34, v35
	v_mov_b32_e32 v35, v60
	v_pk_add_f32 v[24:25], v[66:67], v[24:25] neg_lo:[0,1] neg_hi:[0,1]
	v_pk_add_f32 v[62:63], v[64:65], v[30:31] op_sel:[0,1] op_sel_hi:[1,0]
	v_sub_f32_e32 v68, v58, v59
	v_pk_mul_f32 v[58:59], v[52:53], s[16:17] op_sel_hi:[1,0]
	v_pk_mul_f32 v[60:61], v[32:33], s[8:9]
	v_pk_add_f32 v[64:65], v[64:65], v[30:31] op_sel:[0,1] op_sel_hi:[1,0] neg_lo:[0,1] neg_hi:[0,1]
	v_pk_add_f32 v[30:31], v[30:31], v[34:35] op_sel:[1,0] op_sel_hi:[0,1] neg_lo:[0,1] neg_hi:[0,1]
	v_pk_add_f32 v[56:57], v[66:67], v[56:57]
	v_pk_add_f32 v[34:35], v[62:63], v[34:35]
	v_pk_mul_f32 v[24:25], v[24:25], s[14:15] op_sel_hi:[1,0]
	v_pk_add_f32 v[28:29], v[28:29], v[56:57]
	v_pk_mul_f32 v[62:63], v[64:65], s[18:19] op_sel_hi:[1,0]
	v_pk_mul_f32 v[64:65], v[30:31], s[20:21] op_sel_hi:[1,0]
	;; [unrolled: 1-line block ×3, first 2 shown]
	s_mov_b32 s11, 0xbf4a47b2
	v_sub_f32_e64 v59, -v60, v59
	v_mov_b32_e32 v60, v25
	v_pk_fma_f32 v[56:57], v[56:57], s[12:13], v[28:29] op_sel_hi:[1,0,1]
	v_fmamk_f32 v69, v68, 0x3f4a47b2, v24
	v_pk_fma_f32 v[52:53], v[52:53], s[16:17], v[24:25] op_sel_hi:[1,0,1] neg_lo:[0,0,1] neg_hi:[0,0,1]
	v_fma_f32 v24, v68, s11, -v58
	v_add_f32_e32 v58, v63, v61
	v_pk_fma_f32 v[30:31], v[30:31], s[20:21], v[62:63] op_sel_hi:[1,0,1] neg_lo:[0,0,1] neg_hi:[0,0,1]
	v_pk_fma_f32 v[60:61], v[32:33], s[8:9], v[60:61]
	v_pk_fma_f32 v[32:33], v[32:33], s[8:9], v[64:65] neg_lo:[1,0,1] neg_hi:[1,0,1]
	v_fmac_f32_e32 v62, 0xbeae86e6, v70
	v_mov_b32_e32 v61, v33
	s_mov_b32 s8, 0x3eae86e6
	v_pk_add_f32 v[32:33], v[52:53], v[56:57]
	v_mov_b32_e32 v52, v67
	v_mov_b32_e32 v53, v57
	v_pk_fma_f32 v[34:35], v[34:35], s[10:11], v[30:31] op_sel_hi:[1,0,1]
	v_mov_b32_e32 v30, v57
	v_mov_b32_e32 v31, v67
	v_fma_f32 v68, v70, s8, -v64
	v_pk_add_f32 v[58:59], v[52:53], v[58:59]
	v_pk_add_f32 v[60:61], v[60:61], v[30:31]
	v_mov_b32_e32 v25, v62
	v_mov_b32_e32 v57, v66
	;; [unrolled: 1-line block ×3, first 2 shown]
	v_pk_add_f32 v[24:25], v[24:25], v[56:57]
	v_pk_add_f32 v[62:63], v[66:67], v[68:69]
	v_mov_b32_e32 v30, v59
	v_mov_b32_e32 v31, v60
	;; [unrolled: 1-line block ×4, first 2 shown]
	v_pk_add_f32 v[52:53], v[62:63], v[24:25]
	v_pk_add_f32 v[30:31], v[30:31], v[56:57] neg_lo:[0,1] neg_hi:[0,1]
	v_pk_add_f32 v[56:57], v[34:35], v[32:33]
	v_pk_add_f32 v[34:35], v[32:33], v[34:35] neg_lo:[0,1] neg_hi:[0,1]
	v_mov_b32_e32 v32, v63
	v_mov_b32_e32 v33, v24
	;; [unrolled: 1-line block ×4, first 2 shown]
	v_pk_add_f32 v[24:25], v[32:33], v[24:25] neg_lo:[0,1] neg_hi:[0,1]
	v_mov_b32_e32 v32, v53
	v_mov_b32_e32 v33, v31
	v_pk_add_f32 v[58:59], v[60:61], v[58:59]
	ds_write2_b64 v172, v[28:29], v[32:33] offset1:1
	v_mov_b32_e32 v32, v52
	v_mov_b32_e32 v33, v30
	;; [unrolled: 1-line block ×4, first 2 shown]
	ds_write2_b64 v172, v[32:33], v[60:61] offset0:2 offset1:3
	v_mov_b32_e32 v32, v56
	v_mov_b32_e32 v33, v35
	;; [unrolled: 1-line block ×4, first 2 shown]
	ds_write2_b64 v172, v[32:33], v[60:61] offset0:4 offset1:5
	v_mov_b32_e32 v32, v24
	v_mov_b32_e32 v33, v58
	ds_write_b64 v172, v[32:33] offset:48
	s_waitcnt lgkmcnt(0)
	s_barrier
	s_and_saveexec_b64 s[8:9], s[0:1]
	s_xor_b64 s[0:1], exec, s[8:9]
	s_andn2_saveexec_b64 s[0:1], s[0:1]
	s_cbranch_execz .LBB0_7
; %bb.6:
	ds_read2_b64 v[28:31], v170 offset1:7
	ds_read2_b64 v[24:27], v170 offset0:42 offset1:49
	ds_read2_b64 v[60:63], v170 offset0:28 offset1:35
	;; [unrolled: 1-line block ×4, first 2 shown]
	ds_read_b64 v[54:55], v170 offset:560
	s_waitcnt lgkmcnt(4)
	v_mov_b32_e32 v58, v25
	s_waitcnt lgkmcnt(3)
	v_mov_b32_e32 v59, v63
	v_mov_b32_e32 v56, v60
	s_waitcnt lgkmcnt(2)
	v_mov_b32_e32 v57, v35
	v_mov_b32_e32 v52, v32
	;; [unrolled: 1-line block ×6, first 2 shown]
.LBB0_7:
	s_or_b64 exec, exec, s[0:1]
	s_and_saveexec_b64 s[0:1], vcc
	s_cbranch_execz .LBB0_9
; %bb.8:
	s_waitcnt lgkmcnt(0)
	v_pk_mul_f32 v[32:33], v[10:11], v[54:55] op_sel:[0,1]
	v_pk_mul_f32 v[64:65], v[14:15], v[52:53] op_sel_hi:[1,0]
	v_pk_fma_f32 v[76:77], v[10:11], v[54:55], v[32:33] op_sel:[0,0,1] op_sel_hi:[1,1,0]
	v_pk_fma_f32 v[10:11], v[10:11], v[54:55], v[32:33] op_sel:[0,0,1] op_sel_hi:[1,0,0] neg_lo:[1,0,0] neg_hi:[1,0,0]
	v_pk_mul_f32 v[62:63], v[8:9], v[22:23] op_sel:[0,1]
	v_mov_b32_e32 v77, v11
	v_pk_fma_f32 v[10:11], v[14:15], v[30:31], v[64:65] op_sel:[1,0,0] op_sel_hi:[0,1,1]
	v_pk_fma_f32 v[14:15], v[14:15], v[30:31], v[64:65] op_sel:[1,0,0] op_sel_hi:[0,0,1] neg_lo:[0,0,1] neg_hi:[0,0,1]
	v_pk_mul_f32 v[68:69], v[16:17], v[56:57] op_sel:[0,1]
	v_mov_b32_e32 v11, v15
	;; [unrolled: 4-line block ×5, first 2 shown]
	v_pk_fma_f32 v[6:7], v[18:19], v[56:57], v[72:73] op_sel:[0,0,1] op_sel_hi:[1,1,0]
	v_pk_fma_f32 v[18:19], v[18:19], v[56:57], v[72:73] op_sel:[0,0,1] op_sel_hi:[1,0,0] neg_lo:[1,0,0] neg_hi:[1,0,0]
	v_pk_mul_f32 v[74:75], v[2:3], v[58:59] op_sel_hi:[1,0]
	v_pk_mul_f32 v[58:59], v[0:1], v[58:59] op_sel:[0,1]
	v_mov_b32_e32 v7, v19
	v_pk_fma_f32 v[18:19], v[4:5], v[26:27], v[70:71] op_sel:[0,0,1] op_sel_hi:[1,1,0]
	v_pk_fma_f32 v[4:5], v[4:5], v[26:27], v[70:71] op_sel:[0,0,1] op_sel_hi:[1,0,0] neg_lo:[1,0,0] neg_hi:[1,0,0]
	v_pk_mul_f32 v[60:61], v[12:13], v[30:31] op_sel:[0,1]
	v_mov_b32_e32 v19, v5
	v_pk_fma_f32 v[4:5], v[0:1], v[24:25], v[58:59] op_sel:[0,1,1] op_sel_hi:[1,1,0]
	v_pk_fma_f32 v[0:1], v[0:1], v[24:25], v[58:59] op_sel:[0,1,1] op_sel_hi:[1,1,0] neg_lo:[1,0,0] neg_hi:[1,0,0]
	s_mov_b32 s20, 0xbf0a6770
	v_mov_b32_e32 v5, v1
	v_pk_fma_f32 v[0:1], v[2:3], v[24:25], v[74:75] op_sel:[0,0,1] op_sel_hi:[1,1,0]
	v_pk_fma_f32 v[2:3], v[2:3], v[24:25], v[74:75] op_sel:[0,0,1] op_sel_hi:[1,0,0] neg_lo:[1,0,0] neg_hi:[1,0,0]
	v_pk_add_f32 v[24:25], v[10:11], v[14:15] neg_lo:[0,1] neg_hi:[0,1]
	v_mov_b32_e32 v1, v3
	v_pk_fma_f32 v[2:3], v[12:13], v[52:53], v[60:61] op_sel:[0,1,1] op_sel_hi:[1,1,0]
	v_pk_fma_f32 v[12:13], v[12:13], v[52:53], v[60:61] op_sel:[0,1,1] op_sel_hi:[1,1,0] neg_lo:[1,0,0] neg_hi:[1,0,0]
	v_pk_add_f32 v[52:53], v[0:1], v[4:5]
	v_mov_b32_e32 v3, v13
	v_pk_add_f32 v[12:13], v[76:77], v[2:3]
	v_pk_add_f32 v[20:21], v[2:3], v[76:77] neg_lo:[0,1] neg_hi:[0,1]
	v_pk_add_f32 v[2:3], v[28:29], v[2:3]
	v_pk_add_f32 v[54:55], v[4:5], v[0:1] neg_lo:[0,1] neg_hi:[0,1]
	v_pk_add_f32 v[2:3], v[10:11], v[2:3]
	s_mov_b32 s10, 0x3f575c64
	v_pk_add_f32 v[2:3], v[8:9], v[2:3]
	v_pk_mul_f32 v[56:57], v[20:21], s[20:21] op_sel_hi:[1,0]
	v_pk_add_f32 v[2:3], v[6:7], v[2:3]
	s_mov_b32 s26, 0xbf68dda4
	v_pk_add_f32 v[2:3], v[4:5], v[2:3]
	v_pk_add_f32 v[22:23], v[14:15], v[10:11]
	;; [unrolled: 1-line block ×3, first 2 shown]
	v_pk_fma_f32 v[58:59], v[12:13], s[10:11], v[56:57] op_sel:[0,0,1] op_sel_hi:[1,0,0]
	v_pk_add_f32 v[0:1], v[18:19], v[0:1]
	v_pk_fma_f32 v[56:57], v[12:13], s[10:11], v[56:57] op_sel:[0,0,1] op_sel_hi:[1,0,0] neg_lo:[0,0,1] neg_hi:[0,0,1]
	v_pk_add_f32 v[0:1], v[16:17], v[0:1]
	s_mov_b32 s8, 0x3ed4b147
	v_pk_add_f32 v[0:1], v[14:15], v[0:1]
	v_pk_mul_f32 v[62:63], v[24:25], s[26:27] op_sel_hi:[1,0]
	v_pk_add_f32 v[0:1], v[76:77], v[0:1]
	v_mov_b32_e32 v60, v58
	v_mov_b32_e32 v61, v57
	v_pk_fma_f32 v[64:65], v[22:23], s[8:9], v[62:63] op_sel:[0,0,1] op_sel_hi:[1,0,0]
	v_pk_fma_f32 v[62:63], v[22:23], s[8:9], v[62:63] op_sel:[0,0,1] op_sel_hi:[1,0,0] neg_lo:[0,0,1] neg_hi:[0,0,1]
	s_mov_b32 s18, 0xbf4178ce
	ds_write_b64 v170, v[0:1]
	v_pk_mul_f32 v[0:1], v[20:21], s[26:27] op_sel_hi:[1,0]
	v_pk_add_f32 v[30:31], v[8:9], v[16:17] neg_lo:[0,1] neg_hi:[0,1]
	v_pk_add_f32 v[32:33], v[18:19], v[6:7]
	v_pk_add_f32 v[34:35], v[6:7], v[18:19] neg_lo:[0,1] neg_hi:[0,1]
	v_pk_add_f32 v[60:61], v[28:29], v[60:61]
	v_mov_b32_e32 v66, v64
	v_mov_b32_e32 v67, v63
	s_mov_b32 s14, 0xbf7d64f0
	s_mov_b32 s16, 0xbf27a4f4
	v_pk_fma_f32 v[2:3], v[12:13], s[8:9], v[0:1] op_sel:[0,0,1] op_sel_hi:[1,0,0]
	v_pk_fma_f32 v[0:1], v[12:13], s[8:9], v[0:1] op_sel:[0,0,1] op_sel_hi:[1,0,0] neg_lo:[0,0,1] neg_hi:[0,0,1]
	v_pk_mul_f32 v[6:7], v[24:25], s[18:19] op_sel_hi:[1,0]
	v_pk_add_f32 v[26:27], v[16:17], v[8:9]
	v_pk_add_f32 v[60:61], v[66:67], v[60:61]
	s_mov_b32 s12, 0xbe11bafb
	v_pk_mul_f32 v[66:67], v[30:31], s[14:15] op_sel_hi:[1,0]
	v_mov_b32_e32 v4, v2
	v_mov_b32_e32 v5, v1
	v_pk_fma_f32 v[8:9], v[22:23], s[16:17], v[6:7] op_sel:[0,0,1] op_sel_hi:[1,0,0]
	v_pk_fma_f32 v[6:7], v[22:23], s[16:17], v[6:7] op_sel:[0,0,1] op_sel_hi:[1,0,0] neg_lo:[0,0,1] neg_hi:[0,0,1]
	v_pk_fma_f32 v[68:69], v[26:27], s[12:13], v[66:67] op_sel:[0,0,1] op_sel_hi:[1,0,0]
	v_pk_fma_f32 v[66:67], v[26:27], s[12:13], v[66:67] op_sel:[0,0,1] op_sel_hi:[1,0,0] neg_lo:[0,0,1] neg_hi:[0,0,1]
	v_pk_add_f32 v[4:5], v[28:29], v[4:5]
	v_mov_b32_e32 v10, v8
	v_mov_b32_e32 v11, v7
	s_mov_b32 s26, 0x3e903f40
	v_mov_b32_e32 v70, v68
	v_mov_b32_e32 v71, v67
	s_mov_b32 s22, 0xbf75a155
	v_pk_add_f32 v[4:5], v[10:11], v[4:5]
	v_pk_mul_f32 v[10:11], v[30:31], s[26:27] op_sel_hi:[1,0]
	v_pk_add_f32 v[60:61], v[70:71], v[60:61]
	v_pk_mul_f32 v[70:71], v[34:35], s[18:19] op_sel_hi:[1,0]
	v_pk_fma_f32 v[14:15], v[26:27], s[22:23], v[10:11] op_sel:[0,0,1] op_sel_hi:[1,0,0]
	v_pk_fma_f32 v[10:11], v[26:27], s[22:23], v[10:11] op_sel:[0,0,1] op_sel_hi:[1,0,0] neg_lo:[0,0,1] neg_hi:[0,0,1]
	v_pk_fma_f32 v[72:73], v[32:33], s[16:17], v[70:71] op_sel:[0,0,1] op_sel_hi:[1,0,0]
	v_pk_fma_f32 v[70:71], v[32:33], s[16:17], v[70:71] op_sel:[0,0,1] op_sel_hi:[1,0,0] neg_lo:[0,0,1] neg_hi:[0,0,1]
	v_mov_b32_e32 v16, v14
	v_mov_b32_e32 v17, v11
	s_mov_b32 s28, 0x3f7d64f0
	v_mov_b32_e32 v74, v72
	v_mov_b32_e32 v75, v71
	s_mov_b32 s24, 0xbe903f40
	v_pk_add_f32 v[4:5], v[16:17], v[4:5]
	v_pk_mul_f32 v[16:17], v[34:35], s[28:29] op_sel_hi:[1,0]
	v_pk_add_f32 v[60:61], v[74:75], v[60:61]
	v_pk_mul_f32 v[74:75], v[54:55], s[24:25] op_sel_hi:[1,0]
	v_pk_fma_f32 v[18:19], v[32:33], s[12:13], v[16:17] op_sel:[0,0,1] op_sel_hi:[1,0,0]
	v_pk_fma_f32 v[16:17], v[32:33], s[12:13], v[16:17] op_sel:[0,0,1] op_sel_hi:[1,0,0] neg_lo:[0,0,1] neg_hi:[0,0,1]
	v_pk_fma_f32 v[78:79], v[52:53], s[22:23], v[74:75] op_sel:[0,0,1] op_sel_hi:[1,0,0]
	v_pk_fma_f32 v[74:75], v[52:53], s[22:23], v[74:75] op_sel:[0,0,1] op_sel_hi:[1,0,0] neg_lo:[0,0,1] neg_hi:[0,0,1]
	v_mov_b32_e32 v76, v18
	v_mov_b32_e32 v77, v17
	s_mov_b32 s30, 0x3f0a6770
	v_mov_b32_e32 v80, v78
	v_mov_b32_e32 v81, v75
	v_pk_add_f32 v[4:5], v[76:77], v[4:5]
	v_pk_mul_f32 v[76:77], v[54:55], s[30:31] op_sel_hi:[1,0]
	v_pk_add_f32 v[60:61], v[80:81], v[60:61]
	v_pk_fma_f32 v[80:81], v[52:53], s[10:11], v[76:77] op_sel:[0,0,1] op_sel_hi:[1,0,0]
	v_pk_fma_f32 v[76:77], v[52:53], s[10:11], v[76:77] op_sel:[0,0,1] op_sel_hi:[1,0,0] neg_lo:[0,0,1] neg_hi:[0,0,1]
	v_mov_b32_e32 v82, v80
	v_mov_b32_e32 v83, v77
	v_lshl_add_u32 v124, v41, 3, v171
	v_pk_add_f32 v[4:5], v[82:83], v[4:5]
	ds_write2_b64 v124, v[60:61], v[4:5] offset0:7 offset1:14
	v_pk_mul_f32 v[4:5], v[20:21], s[14:15] op_sel_hi:[1,0]
	v_pk_mul_f32 v[84:85], v[24:25], s[26:27] op_sel_hi:[1,0]
	v_pk_fma_f32 v[60:61], v[12:13], s[12:13], v[4:5] op_sel:[0,0,1] op_sel_hi:[1,0,0]
	v_pk_fma_f32 v[4:5], v[12:13], s[12:13], v[4:5] op_sel:[0,0,1] op_sel_hi:[1,0,0] neg_lo:[0,0,1] neg_hi:[0,0,1]
	v_mov_b32_e32 v82, v60
	v_mov_b32_e32 v83, v5
	v_pk_fma_f32 v[86:87], v[22:23], s[22:23], v[84:85] op_sel:[0,0,1] op_sel_hi:[1,0,0]
	v_pk_fma_f32 v[84:85], v[22:23], s[22:23], v[84:85] op_sel:[0,0,1] op_sel_hi:[1,0,0] neg_lo:[0,0,1] neg_hi:[0,0,1]
	v_pk_add_f32 v[82:83], v[28:29], v[82:83]
	v_mov_b32_e32 v88, v86
	v_mov_b32_e32 v89, v85
	s_mov_b32 s26, 0x3f68dda4
	v_pk_add_f32 v[82:83], v[88:89], v[82:83]
	v_pk_mul_f32 v[88:89], v[30:31], s[26:27] op_sel_hi:[1,0]
	v_pk_mul_f32 v[106:107], v[24:25], s[28:29] op_sel_hi:[1,0]
	v_pk_fma_f32 v[90:91], v[26:27], s[8:9], v[88:89] op_sel:[0,0,1] op_sel_hi:[1,0,0]
	v_pk_fma_f32 v[88:89], v[26:27], s[8:9], v[88:89] op_sel:[0,0,1] op_sel_hi:[1,0,0] neg_lo:[0,0,1] neg_hi:[0,0,1]
	v_mov_b32_e32 v92, v90
	v_mov_b32_e32 v93, v89
	v_pk_add_f32 v[82:83], v[92:93], v[82:83]
	v_pk_mul_f32 v[92:93], v[34:35], s[20:21] op_sel_hi:[1,0]
	v_pk_fma_f32 v[108:109], v[22:23], s[12:13], v[106:107] op_sel:[0,0,1] op_sel_hi:[1,0,0]
	v_pk_fma_f32 v[94:95], v[32:33], s[10:11], v[92:93] op_sel:[0,0,1] op_sel_hi:[1,0,0]
	v_pk_fma_f32 v[92:93], v[32:33], s[10:11], v[92:93] op_sel:[0,0,1] op_sel_hi:[1,0,0] neg_lo:[0,0,1] neg_hi:[0,0,1]
	v_mov_b32_e32 v96, v94
	v_mov_b32_e32 v97, v93
	v_pk_add_f32 v[82:83], v[96:97], v[82:83]
	v_pk_mul_f32 v[96:97], v[54:55], s[18:19] op_sel_hi:[1,0]
	v_pk_fma_f32 v[106:107], v[22:23], s[12:13], v[106:107] op_sel:[0,0,1] op_sel_hi:[1,0,0] neg_lo:[0,0,1] neg_hi:[0,0,1]
	v_pk_fma_f32 v[98:99], v[52:53], s[16:17], v[96:97] op_sel:[0,0,1] op_sel_hi:[1,0,0]
	v_pk_fma_f32 v[96:97], v[52:53], s[16:17], v[96:97] op_sel:[0,0,1] op_sel_hi:[1,0,0] neg_lo:[0,0,1] neg_hi:[0,0,1]
	v_mov_b32_e32 v100, v98
	v_mov_b32_e32 v101, v97
	v_pk_add_f32 v[82:83], v[100:101], v[82:83]
	v_pk_mul_f32 v[100:101], v[20:21], s[18:19] op_sel_hi:[1,0]
	v_mov_b32_e32 v110, v108
	v_pk_fma_f32 v[102:103], v[12:13], s[16:17], v[100:101] op_sel:[0,0,1] op_sel_hi:[1,0,0]
	v_pk_fma_f32 v[100:101], v[12:13], s[16:17], v[100:101] op_sel:[0,0,1] op_sel_hi:[1,0,0] neg_lo:[0,0,1] neg_hi:[0,0,1]
	v_mov_b32_e32 v104, v102
	v_mov_b32_e32 v105, v101
	v_pk_add_f32 v[104:105], v[28:29], v[104:105]
	v_mov_b32_e32 v111, v107
	v_pk_add_f32 v[104:105], v[110:111], v[104:105]
	v_pk_mul_f32 v[110:111], v[30:31], s[20:21] op_sel_hi:[1,0]
	v_pk_mul_f32 v[20:21], v[20:21], s[24:25] op_sel_hi:[1,0]
	v_pk_fma_f32 v[112:113], v[26:27], s[10:11], v[110:111] op_sel:[0,0,1] op_sel_hi:[1,0,0]
	v_pk_fma_f32 v[110:111], v[26:27], s[10:11], v[110:111] op_sel:[0,0,1] op_sel_hi:[1,0,0] neg_lo:[0,0,1] neg_hi:[0,0,1]
	v_mov_b32_e32 v114, v112
	v_mov_b32_e32 v115, v111
	v_pk_add_f32 v[104:105], v[114:115], v[104:105]
	v_pk_mul_f32 v[114:115], v[34:35], s[24:25] op_sel_hi:[1,0]
	v_pk_mul_f32 v[24:25], v[24:25], s[30:31] op_sel_hi:[1,0]
	v_pk_fma_f32 v[116:117], v[32:33], s[22:23], v[114:115] op_sel:[0,0,1] op_sel_hi:[1,0,0]
	v_pk_fma_f32 v[114:115], v[32:33], s[22:23], v[114:115] op_sel:[0,0,1] op_sel_hi:[1,0,0] neg_lo:[0,0,1] neg_hi:[0,0,1]
	v_mov_b32_e32 v118, v116
	v_mov_b32_e32 v119, v115
	v_pk_add_f32 v[104:105], v[118:119], v[104:105]
	v_pk_mul_f32 v[118:119], v[54:55], s[26:27] op_sel_hi:[1,0]
	v_mov_b32_e32 v101, v103
	v_pk_fma_f32 v[120:121], v[52:53], s[8:9], v[118:119] op_sel:[0,0,1] op_sel_hi:[1,0,0]
	v_pk_fma_f32 v[118:119], v[52:53], s[8:9], v[118:119] op_sel:[0,0,1] op_sel_hi:[1,0,0] neg_lo:[0,0,1] neg_hi:[0,0,1]
	v_mov_b32_e32 v122, v120
	v_mov_b32_e32 v123, v119
	v_pk_add_f32 v[104:105], v[122:123], v[104:105]
	ds_write2_b64 v124, v[82:83], v[104:105] offset0:21 offset1:28
	v_pk_fma_f32 v[82:83], v[12:13], s[22:23], v[20:21] op_sel:[0,0,1] op_sel_hi:[1,0,0]
	v_pk_fma_f32 v[12:13], v[12:13], s[22:23], v[20:21] op_sel:[0,0,1] op_sel_hi:[1,0,0] neg_lo:[0,0,1] neg_hi:[0,0,1]
	v_mov_b32_e32 v20, v82
	v_mov_b32_e32 v21, v13
	v_pk_fma_f32 v[104:105], v[22:23], s[10:11], v[24:25] op_sel:[0,0,1] op_sel_hi:[1,0,0]
	v_pk_fma_f32 v[22:23], v[22:23], s[10:11], v[24:25] op_sel:[0,0,1] op_sel_hi:[1,0,0] neg_lo:[0,0,1] neg_hi:[0,0,1]
	v_pk_add_f32 v[20:21], v[28:29], v[20:21]
	v_mov_b32_e32 v24, v104
	v_mov_b32_e32 v25, v23
	v_pk_add_f32 v[20:21], v[24:25], v[20:21]
	v_pk_mul_f32 v[24:25], v[30:31], s[18:19] op_sel_hi:[1,0]
	v_mov_b32_e32 v13, v83
	v_pk_fma_f32 v[30:31], v[26:27], s[16:17], v[24:25] op_sel:[0,0,1] op_sel_hi:[1,0,0]
	v_pk_fma_f32 v[24:25], v[26:27], s[16:17], v[24:25] op_sel:[0,0,1] op_sel_hi:[1,0,0] neg_lo:[0,0,1] neg_hi:[0,0,1]
	v_mov_b32_e32 v26, v30
	v_mov_b32_e32 v27, v25
	v_pk_add_f32 v[20:21], v[26:27], v[20:21]
	v_pk_mul_f32 v[26:27], v[34:35], s[26:27] op_sel_hi:[1,0]
	v_pk_add_f32 v[12:13], v[28:29], v[12:13]
	v_pk_fma_f32 v[34:35], v[32:33], s[8:9], v[26:27] op_sel:[0,0,1] op_sel_hi:[1,0,0]
	v_pk_fma_f32 v[26:27], v[32:33], s[8:9], v[26:27] op_sel:[0,0,1] op_sel_hi:[1,0,0] neg_lo:[0,0,1] neg_hi:[0,0,1]
	v_mov_b32_e32 v32, v34
	v_mov_b32_e32 v33, v27
	;; [unrolled: 1-line block ×3, first 2 shown]
	v_pk_add_f32 v[20:21], v[32:33], v[20:21]
	v_pk_mul_f32 v[32:33], v[54:55], s[14:15] op_sel_hi:[1,0]
	v_pk_add_f32 v[12:13], v[22:23], v[12:13]
	v_mov_b32_e32 v25, v31
	v_pk_fma_f32 v[54:55], v[52:53], s[12:13], v[32:33] op_sel:[0,0,1] op_sel_hi:[1,0,0]
	v_pk_fma_f32 v[32:33], v[52:53], s[12:13], v[32:33] op_sel:[0,0,1] op_sel_hi:[1,0,0] neg_lo:[0,0,1] neg_hi:[0,0,1]
	v_pk_add_f32 v[12:13], v[24:25], v[12:13]
	v_mov_b32_e32 v27, v35
	v_mov_b32_e32 v52, v54
	;; [unrolled: 1-line block ×3, first 2 shown]
	v_pk_add_f32 v[12:13], v[26:27], v[12:13]
	v_mov_b32_e32 v33, v55
	v_pk_add_f32 v[20:21], v[52:53], v[20:21]
	v_pk_add_f32 v[12:13], v[32:33], v[12:13]
	v_mov_b32_e32 v5, v61
	v_mov_b32_e32 v1, v3
	;; [unrolled: 1-line block ×3, first 2 shown]
	ds_write2_b64 v124, v[20:21], v[12:13] offset0:35 offset1:42
	v_pk_add_f32 v[12:13], v[28:29], v[100:101]
	v_mov_b32_e32 v107, v109
	v_pk_add_f32 v[4:5], v[28:29], v[4:5]
	v_mov_b32_e32 v85, v87
	;; [unrolled: 2-line block ×16, first 2 shown]
	v_pk_add_f32 v[12:13], v[118:119], v[12:13]
	v_pk_add_f32 v[4:5], v[96:97], v[4:5]
	;; [unrolled: 1-line block ×4, first 2 shown]
	ds_write2_b64 v124, v[12:13], v[4:5] offset0:49 offset1:56
	ds_write2_b64 v124, v[0:1], v[2:3] offset0:63 offset1:70
.LBB0_9:
	s_or_b64 exec, exec, s[0:1]
	s_waitcnt lgkmcnt(0)
	s_barrier
	ds_read2_b64 v[0:3], v170 offset1:11
	v_mad_u64_u32 v[6:7], s[0:1], s6, v40, 0
	v_mov_b32_e32 v8, v7
	v_mad_u64_u32 v[8:9], s[0:1], s7, v40, v[8:9]
	v_mov_b32_e32 v7, v8
	s_waitcnt lgkmcnt(0)
	v_mul_f32_e32 v8, v51, v1
	v_fmac_f32_e32 v8, v50, v0
	v_mul_f32_e32 v0, v51, v0
	s_mov_b32 s0, 0x606a63be
	v_fma_f32 v0, v50, v1, -v0
	v_cvt_f64_f32_e32 v[8:9], v8
	s_mov_b32 s1, 0x3f8a98ef
	v_cvt_f64_f32_e32 v[0:1], v0
	v_mul_f64 v[8:9], v[8:9], s[0:1]
	v_mul_f64 v[0:1], v[0:1], s[0:1]
	v_mov_b32_e32 v4, s2
	v_mov_b32_e32 v5, s3
	v_cvt_f32_f64_e32 v8, v[8:9]
	v_cvt_f32_f64_e32 v9, v[0:1]
	v_mad_u64_u32 v[0:1], s[2:3], s4, v41, 0
	v_mov_b32_e32 v10, v1
	v_mad_u64_u32 v[10:11], s[2:3], s5, v41, v[10:11]
	v_mov_b32_e32 v1, v10
	v_lshl_add_u64 v[4:5], v[6:7], 3, v[4:5]
	v_lshl_add_u64 v[4:5], v[0:1], 3, v[4:5]
	v_mul_f32_e32 v0, v49, v3
	v_fmac_f32_e32 v0, v48, v2
	v_cvt_f64_f32_e32 v[0:1], v0
	v_mul_f64 v[0:1], v[0:1], s[0:1]
	v_cvt_f32_f64_e32 v6, v[0:1]
	v_mul_f32_e32 v0, v49, v2
	v_fma_f32 v0, v48, v3, -v0
	v_cvt_f64_f32_e32 v[0:1], v0
	v_mul_f64 v[0:1], v[0:1], s[0:1]
	v_cvt_f32_f64_e32 v7, v[0:1]
	ds_read2_b64 v[0:3], v170 offset0:22 offset1:33
	global_store_dwordx2 v[4:5], v[8:9], off
	v_mov_b32_e32 v8, 0x58
	v_mad_u64_u32 v[4:5], s[2:3], s4, v8, v[4:5]
	s_mulk_i32 s5, 0x58
	v_add_u32_e32 v5, s5, v5
	global_store_dwordx2 v[4:5], v[6:7], off
	s_waitcnt lgkmcnt(0)
	v_mul_f32_e32 v6, v47, v1
	v_fmac_f32_e32 v6, v46, v0
	v_mul_f32_e32 v0, v47, v0
	v_fma_f32 v0, v46, v1, -v0
	v_cvt_f64_f32_e32 v[6:7], v6
	v_cvt_f64_f32_e32 v[0:1], v0
	v_mul_f64 v[6:7], v[6:7], s[0:1]
	v_mul_f64 v[0:1], v[0:1], s[0:1]
	v_cvt_f32_f64_e32 v6, v[6:7]
	v_cvt_f32_f64_e32 v7, v[0:1]
	v_mul_f32_e32 v0, v45, v3
	v_fmac_f32_e32 v0, v44, v2
	v_mad_u64_u32 v[4:5], s[2:3], s4, v8, v[4:5]
	v_cvt_f64_f32_e32 v[0:1], v0
	v_add_u32_e32 v5, s5, v5
	v_mul_f64 v[0:1], v[0:1], s[0:1]
	global_store_dwordx2 v[4:5], v[6:7], off
	v_cvt_f32_f64_e32 v6, v[0:1]
	v_mul_f32_e32 v0, v45, v2
	v_fma_f32 v0, v44, v3, -v0
	v_cvt_f64_f32_e32 v[0:1], v0
	v_mul_f64 v[0:1], v[0:1], s[0:1]
	v_cvt_f32_f64_e32 v7, v[0:1]
	ds_read2_b64 v[0:3], v170 offset0:44 offset1:55
	v_mad_u64_u32 v[4:5], s[2:3], s4, v8, v[4:5]
	v_add_u32_e32 v5, s5, v5
	global_store_dwordx2 v[4:5], v[6:7], off
	s_waitcnt lgkmcnt(0)
	v_mul_f32_e32 v6, v43, v1
	v_fmac_f32_e32 v6, v42, v0
	v_mul_f32_e32 v0, v43, v0
	v_fma_f32 v0, v42, v1, -v0
	v_cvt_f64_f32_e32 v[6:7], v6
	v_cvt_f64_f32_e32 v[0:1], v0
	v_mul_f64 v[6:7], v[6:7], s[0:1]
	v_mul_f64 v[0:1], v[0:1], s[0:1]
	v_cvt_f32_f64_e32 v6, v[6:7]
	v_cvt_f32_f64_e32 v7, v[0:1]
	v_mad_u64_u32 v[0:1], s[2:3], s4, v8, v[4:5]
	v_mul_f32_e32 v4, v39, v3
	v_fmac_f32_e32 v4, v38, v2
	v_mul_f32_e32 v2, v39, v2
	v_fma_f32 v2, v38, v3, -v2
	v_cvt_f64_f32_e32 v[4:5], v4
	v_cvt_f64_f32_e32 v[2:3], v2
	v_mul_f64 v[4:5], v[4:5], s[0:1]
	v_mul_f64 v[2:3], v[2:3], s[0:1]
	v_cvt_f32_f64_e32 v4, v[4:5]
	v_cvt_f32_f64_e32 v5, v[2:3]
	ds_read_b64 v[2:3], v170 offset:528
	v_add_u32_e32 v1, s5, v1
	global_store_dwordx2 v[0:1], v[6:7], off
	v_mad_u64_u32 v[0:1], s[2:3], s4, v8, v[0:1]
	v_add_u32_e32 v1, s5, v1
	global_store_dwordx2 v[0:1], v[4:5], off
	s_waitcnt lgkmcnt(0)
	v_mul_f32_e32 v4, v37, v3
	v_fmac_f32_e32 v4, v36, v2
	v_mul_f32_e32 v2, v37, v2
	v_fma_f32 v2, v36, v3, -v2
	v_cvt_f64_f32_e32 v[4:5], v4
	v_cvt_f64_f32_e32 v[2:3], v2
	v_mul_f64 v[4:5], v[4:5], s[0:1]
	v_mul_f64 v[2:3], v[2:3], s[0:1]
	v_mad_u64_u32 v[0:1], s[0:1], s4, v8, v[0:1]
	v_cvt_f32_f64_e32 v4, v[4:5]
	v_cvt_f32_f64_e32 v5, v[2:3]
	v_add_u32_e32 v1, s5, v1
	global_store_dwordx2 v[0:1], v[4:5], off
.LBB0_10:
	s_endpgm
	.section	.rodata,"a",@progbits
	.p2align	6, 0x0
	.amdhsa_kernel bluestein_single_back_len77_dim1_sp_op_CI_CI
		.amdhsa_group_segment_fixed_size 14168
		.amdhsa_private_segment_fixed_size 0
		.amdhsa_kernarg_size 104
		.amdhsa_user_sgpr_count 2
		.amdhsa_user_sgpr_dispatch_ptr 0
		.amdhsa_user_sgpr_queue_ptr 0
		.amdhsa_user_sgpr_kernarg_segment_ptr 1
		.amdhsa_user_sgpr_dispatch_id 0
		.amdhsa_user_sgpr_kernarg_preload_length 0
		.amdhsa_user_sgpr_kernarg_preload_offset 0
		.amdhsa_user_sgpr_private_segment_size 0
		.amdhsa_uses_dynamic_stack 0
		.amdhsa_enable_private_segment 0
		.amdhsa_system_sgpr_workgroup_id_x 1
		.amdhsa_system_sgpr_workgroup_id_y 0
		.amdhsa_system_sgpr_workgroup_id_z 0
		.amdhsa_system_sgpr_workgroup_info 0
		.amdhsa_system_vgpr_workitem_id 0
		.amdhsa_next_free_vgpr 176
		.amdhsa_next_free_sgpr 36
		.amdhsa_accum_offset 176
		.amdhsa_reserve_vcc 1
		.amdhsa_float_round_mode_32 0
		.amdhsa_float_round_mode_16_64 0
		.amdhsa_float_denorm_mode_32 3
		.amdhsa_float_denorm_mode_16_64 3
		.amdhsa_dx10_clamp 1
		.amdhsa_ieee_mode 1
		.amdhsa_fp16_overflow 0
		.amdhsa_tg_split 0
		.amdhsa_exception_fp_ieee_invalid_op 0
		.amdhsa_exception_fp_denorm_src 0
		.amdhsa_exception_fp_ieee_div_zero 0
		.amdhsa_exception_fp_ieee_overflow 0
		.amdhsa_exception_fp_ieee_underflow 0
		.amdhsa_exception_fp_ieee_inexact 0
		.amdhsa_exception_int_div_zero 0
	.end_amdhsa_kernel
	.text
.Lfunc_end0:
	.size	bluestein_single_back_len77_dim1_sp_op_CI_CI, .Lfunc_end0-bluestein_single_back_len77_dim1_sp_op_CI_CI
                                        ; -- End function
	.section	.AMDGPU.csdata,"",@progbits
; Kernel info:
; codeLenInByte = 7240
; NumSgprs: 42
; NumVgprs: 176
; NumAgprs: 0
; TotalNumVgprs: 176
; ScratchSize: 0
; MemoryBound: 0
; FloatMode: 240
; IeeeMode: 1
; LDSByteSize: 14168 bytes/workgroup (compile time only)
; SGPRBlocks: 5
; VGPRBlocks: 21
; NumSGPRsForWavesPerEU: 42
; NumVGPRsForWavesPerEU: 176
; AccumOffset: 176
; Occupancy: 2
; WaveLimiterHint : 1
; COMPUTE_PGM_RSRC2:SCRATCH_EN: 0
; COMPUTE_PGM_RSRC2:USER_SGPR: 2
; COMPUTE_PGM_RSRC2:TRAP_HANDLER: 0
; COMPUTE_PGM_RSRC2:TGID_X_EN: 1
; COMPUTE_PGM_RSRC2:TGID_Y_EN: 0
; COMPUTE_PGM_RSRC2:TGID_Z_EN: 0
; COMPUTE_PGM_RSRC2:TIDIG_COMP_CNT: 0
; COMPUTE_PGM_RSRC3_GFX90A:ACCUM_OFFSET: 43
; COMPUTE_PGM_RSRC3_GFX90A:TG_SPLIT: 0
	.text
	.p2alignl 6, 3212836864
	.fill 256, 4, 3212836864
	.type	__hip_cuid_76636c97c924c04,@object ; @__hip_cuid_76636c97c924c04
	.section	.bss,"aw",@nobits
	.globl	__hip_cuid_76636c97c924c04
__hip_cuid_76636c97c924c04:
	.byte	0                               ; 0x0
	.size	__hip_cuid_76636c97c924c04, 1

	.ident	"AMD clang version 19.0.0git (https://github.com/RadeonOpenCompute/llvm-project roc-6.4.0 25133 c7fe45cf4b819c5991fe208aaa96edf142730f1d)"
	.section	".note.GNU-stack","",@progbits
	.addrsig
	.addrsig_sym __hip_cuid_76636c97c924c04
	.amdgpu_metadata
---
amdhsa.kernels:
  - .agpr_count:     0
    .args:
      - .actual_access:  read_only
        .address_space:  global
        .offset:         0
        .size:           8
        .value_kind:     global_buffer
      - .actual_access:  read_only
        .address_space:  global
        .offset:         8
        .size:           8
        .value_kind:     global_buffer
      - .actual_access:  read_only
        .address_space:  global
        .offset:         16
        .size:           8
        .value_kind:     global_buffer
      - .actual_access:  read_only
        .address_space:  global
        .offset:         24
        .size:           8
        .value_kind:     global_buffer
      - .actual_access:  read_only
        .address_space:  global
        .offset:         32
        .size:           8
        .value_kind:     global_buffer
      - .offset:         40
        .size:           8
        .value_kind:     by_value
      - .address_space:  global
        .offset:         48
        .size:           8
        .value_kind:     global_buffer
      - .address_space:  global
        .offset:         56
        .size:           8
        .value_kind:     global_buffer
      - .address_space:  global
        .offset:         64
        .size:           8
        .value_kind:     global_buffer
      - .address_space:  global
        .offset:         72
        .size:           8
        .value_kind:     global_buffer
      - .offset:         80
        .size:           4
        .value_kind:     by_value
      - .address_space:  global
        .offset:         88
        .size:           8
        .value_kind:     global_buffer
      - .address_space:  global
        .offset:         96
        .size:           8
        .value_kind:     global_buffer
    .group_segment_fixed_size: 14168
    .kernarg_segment_align: 8
    .kernarg_segment_size: 104
    .language:       OpenCL C
    .language_version:
      - 2
      - 0
    .max_flat_workgroup_size: 253
    .name:           bluestein_single_back_len77_dim1_sp_op_CI_CI
    .private_segment_fixed_size: 0
    .sgpr_count:     42
    .sgpr_spill_count: 0
    .symbol:         bluestein_single_back_len77_dim1_sp_op_CI_CI.kd
    .uniform_work_group_size: 1
    .uses_dynamic_stack: false
    .vgpr_count:     176
    .vgpr_spill_count: 0
    .wavefront_size: 64
amdhsa.target:   amdgcn-amd-amdhsa--gfx950
amdhsa.version:
  - 1
  - 2
...

	.end_amdgpu_metadata
